;; amdgpu-corpus repo=triton-lang/triton kind=triton arch=gfx1201 opt=O3 lang=triton
	.amdgcn_target "amdgcn-amd-amdhsa--gfx1201"
	.amdhsa_code_object_version 5
	.text
	.globl	transpose_kernel                ; -- Begin function transpose_kernel
	.p2align	8
	.type	transpose_kernel,@function
transpose_kernel:                       ; @transpose_kernel
.Lfunc_begin0:
	.file	1 "/root/src/amdgpu-assembly/repos/triton-lang__triton-aot" "transpose_2d.py"
	.loc	1 7 0                           ; transpose_2d.py:7:0
	.cfi_sections .debug_frame
	.cfi_startproc
; %bb.0:
	s_clause 0x1
	s_load_b128 s[4:7], s[0:1], 0x10
	s_load_b64 s[8:9], s[0:1], 0x0
.Ltmp0:
	.loc	1 12 40 prologue_end            ; transpose_2d.py:12:40
	v_and_b32_e32 v5, 31, v0
	.loc	1 19 13                         ; transpose_2d.py:19:13
	s_bfe_u32 s3, ttmp8, 0x50019
	.loc	1 13 17                         ; transpose_2d.py:13:17
	s_lshl_b32 s2, ttmp7, 6
	.loc	1 12 40                         ; transpose_2d.py:12:40
	s_lshl_b32 s27, s3, 5
	.loc	1 13 17                         ; transpose_2d.py:13:17
	s_and_b32 s10, s2, 0x3fffc0
	.loc	1 12 40                         ; transpose_2d.py:12:40
	v_and_or_b32 v3, s27, 32, v5
	.loc	1 12 17 is_stmt 0               ; transpose_2d.py:12:17
	s_lshl_b32 s16, ttmp9, 6
	.loc	1 12 40                         ; transpose_2d.py:12:40
	s_bfe_u32 s26, s3, 0x20001
	v_mov_b32_e32 v6, 0
	.loc	1 12 27                         ; transpose_2d.py:12:27
	s_wait_alu depctr_sa_sdst(0)
	s_or_b32 s2, s26, s16
	.loc	1 13 27 is_stmt 1               ; transpose_2d.py:13:27
	v_or_b32_e32 v4, s10, v3
	.loc	1 15 65                         ; transpose_2d.py:15:65
	s_wait_kmcnt 0x0
	s_delay_alu instid0(VALU_DEP_1)
	v_mul_lo_u32 v1, s7, v4
	.loc	1 14 46                         ; transpose_2d.py:14:46
	v_cmp_gt_i32_e32 vcc_lo, s5, v4
	.loc	1 14 26 is_stmt 0               ; transpose_2d.py:14:26
	s_cmp_lt_i32 s2, s4
	v_mov_b32_e32 v4, 0
	s_cselect_b32 s7, -1, 0
	.loc	1 14 32                         ; transpose_2d.py:14:32
	s_wait_alu depctr_sa_sdst(0)
	s_and_b32 s11, s7, vcc_lo
	s_delay_alu instid0(VALU_DEP_3) | instskip(NEXT) | instid1(VALU_DEP_1)
	.loc	1 15 51 is_stmt 1               ; transpose_2d.py:15:51
	v_ashrrev_i32_e32 v2, 31, v1
	v_lshlrev_b64_e32 v[1:2], 2, v[1:2]
	.loc	1 15 16 is_stmt 0               ; transpose_2d.py:15:16
	s_wait_alu depctr_sa_sdst(0)
	s_and_saveexec_b32 s7, s11
	s_cbranch_execz .LBB0_2
; %bb.1:
	.loc	1 0 16                          ; transpose_2d.py:0:16
	s_mul_i32 s12, s6, s2
	s_delay_alu instid0(SALU_CYCLE_1) | instskip(NEXT) | instid1(SALU_CYCLE_1)
	s_ashr_i32 s13, s12, 31
	s_lshl_b64 s[12:13], s[12:13], 2
	s_delay_alu instid0(SALU_CYCLE_1) | instskip(NEXT) | instid1(SALU_CYCLE_1)
	s_add_nc_u64 s[12:13], s[8:9], s[12:13]
	v_add_co_u32 v6, s2, s12, v1
	s_delay_alu instid0(VALU_DEP_1)
	v_add_co_ci_u32_e64 v7, null, s13, v2, s2
	.loc	1 15 16                         ; transpose_2d.py:15:16
	global_load_b32 v6, v[6:7], off
.LBB0_2:
	.loc	1 0 16                          ; transpose_2d.py:0:16
	s_wait_alu depctr_sa_sdst(0)
	s_or_b32 exec_lo, exec_lo, s7
	.loc	1 12 40 is_stmt 1               ; transpose_2d.py:12:40
	s_or_b32 s7, s26, 4
	.loc	1 12 27 is_stmt 0               ; transpose_2d.py:12:27
	s_wait_alu depctr_sa_sdst(0)
	s_or_b32 s2, s7, s16
	.loc	1 14 26 is_stmt 1               ; transpose_2d.py:14:26
	s_wait_alu depctr_sa_sdst(0)
	s_cmp_lt_i32 s2, s4
	s_cselect_b32 s11, -1, 0
	.loc	1 14 32 is_stmt 0               ; transpose_2d.py:14:32
	s_wait_alu depctr_sa_sdst(0)
	s_and_b32 s12, s11, vcc_lo
	.loc	1 15 16 is_stmt 1               ; transpose_2d.py:15:16
	s_wait_alu depctr_sa_sdst(0)
	s_and_saveexec_b32 s11, s12
	s_cbranch_execz .LBB0_4
; %bb.3:
	.loc	1 15 39 is_stmt 0               ; transpose_2d.py:15:39
	s_mul_i32 s12, s6, s2
	.loc	1 15 25                         ; transpose_2d.py:15:25
	s_wait_alu depctr_sa_sdst(0)
	s_ashr_i32 s13, s12, 31
	s_wait_alu depctr_sa_sdst(0)
	s_lshl_b64 s[12:13], s[12:13], 2
	s_wait_alu depctr_sa_sdst(0)
	s_add_nc_u64 s[12:13], s[8:9], s[12:13]
	.loc	1 15 51                         ; transpose_2d.py:15:51
	s_wait_alu depctr_sa_sdst(0)
	v_add_co_u32 v7, s2, s12, v1
	s_wait_alu depctr_va_sdst(0)
	v_add_co_ci_u32_e64 v8, null, s13, v2, s2
	.loc	1 15 16                         ; transpose_2d.py:15:16
	global_load_b32 v4, v[7:8], off
.LBB0_4:
	.loc	1 0 16                          ; transpose_2d.py:0:16
	s_wait_alu depctr_sa_sdst(0)
	s_or_b32 exec_lo, exec_lo, s11
	.loc	1 12 40 is_stmt 1               ; transpose_2d.py:12:40
	s_or_b32 s11, s26, 8
	v_dual_mov_b32 v7, 0 :: v_dual_mov_b32 v8, 0
	.loc	1 12 27 is_stmt 0               ; transpose_2d.py:12:27
	s_wait_alu depctr_sa_sdst(0)
	s_or_b32 s2, s11, s16
	.loc	1 14 26 is_stmt 1               ; transpose_2d.py:14:26
	s_wait_alu depctr_sa_sdst(0)
	s_cmp_lt_i32 s2, s4
	s_cselect_b32 s12, -1, 0
	.loc	1 14 32 is_stmt 0               ; transpose_2d.py:14:32
	s_wait_alu depctr_sa_sdst(0)
	s_and_b32 s13, s12, vcc_lo
	.loc	1 15 16 is_stmt 1               ; transpose_2d.py:15:16
	s_wait_alu depctr_sa_sdst(0)
	s_and_saveexec_b32 s12, s13
	s_cbranch_execz .LBB0_6
; %bb.5:
	.loc	1 15 39 is_stmt 0               ; transpose_2d.py:15:39
	s_mul_i32 s14, s6, s2
	s_delay_alu instid0(SALU_CYCLE_1) | instskip(NEXT) | instid1(SALU_CYCLE_1)
	.loc	1 15 25                         ; transpose_2d.py:15:25
	s_ashr_i32 s15, s14, 31
	s_lshl_b64 s[14:15], s[14:15], 2
	s_delay_alu instid0(SALU_CYCLE_1) | instskip(NEXT) | instid1(SALU_CYCLE_1)
	s_add_nc_u64 s[14:15], s[8:9], s[14:15]
	.loc	1 15 51                         ; transpose_2d.py:15:51
	v_add_co_u32 v8, s2, s14, v1
	s_wait_alu depctr_va_sdst(0)
	v_add_co_ci_u32_e64 v9, null, s15, v2, s2
	.loc	1 15 16                         ; transpose_2d.py:15:16
	global_load_b32 v8, v[8:9], off
.LBB0_6:
	.loc	1 0 16                          ; transpose_2d.py:0:16
	s_wait_alu depctr_sa_sdst(0)
	s_or_b32 exec_lo, exec_lo, s12
	.loc	1 12 40 is_stmt 1               ; transpose_2d.py:12:40
	s_or_b32 s12, s26, 12
	.loc	1 12 27 is_stmt 0               ; transpose_2d.py:12:27
	s_wait_alu depctr_sa_sdst(0)
	s_or_b32 s2, s12, s16
	.loc	1 14 26 is_stmt 1               ; transpose_2d.py:14:26
	s_wait_alu depctr_sa_sdst(0)
	s_cmp_lt_i32 s2, s4
	s_cselect_b32 s13, -1, 0
	.loc	1 14 32 is_stmt 0               ; transpose_2d.py:14:32
	s_wait_alu depctr_sa_sdst(0)
	s_and_b32 s14, s13, vcc_lo
	.loc	1 15 16 is_stmt 1               ; transpose_2d.py:15:16
	s_wait_alu depctr_sa_sdst(0)
	s_and_saveexec_b32 s13, s14
	s_cbranch_execz .LBB0_8
; %bb.7:
	.loc	1 15 39 is_stmt 0               ; transpose_2d.py:15:39
	s_mul_i32 s14, s6, s2
	.loc	1 15 25                         ; transpose_2d.py:15:25
	s_wait_alu depctr_sa_sdst(0)
	s_ashr_i32 s15, s14, 31
	s_wait_alu depctr_sa_sdst(0)
	s_lshl_b64 s[14:15], s[14:15], 2
	s_wait_alu depctr_sa_sdst(0)
	s_add_nc_u64 s[14:15], s[8:9], s[14:15]
	.loc	1 15 51                         ; transpose_2d.py:15:51
	s_wait_alu depctr_sa_sdst(0)
	v_add_co_u32 v9, s2, s14, v1
	s_wait_alu depctr_va_sdst(0)
	v_add_co_ci_u32_e64 v10, null, s15, v2, s2
	.loc	1 15 16                         ; transpose_2d.py:15:16
	global_load_b32 v7, v[9:10], off
.LBB0_8:
	.loc	1 0 16                          ; transpose_2d.py:0:16
	s_wait_alu depctr_sa_sdst(0)
	s_or_b32 exec_lo, exec_lo, s13
	.loc	1 12 40 is_stmt 1               ; transpose_2d.py:12:40
	s_or_b32 s13, s26, 16
	v_dual_mov_b32 v9, 0 :: v_dual_mov_b32 v10, 0
	.loc	1 12 27 is_stmt 0               ; transpose_2d.py:12:27
	s_wait_alu depctr_sa_sdst(0)
	s_or_b32 s2, s13, s16
	.loc	1 14 26 is_stmt 1               ; transpose_2d.py:14:26
	s_wait_alu depctr_sa_sdst(0)
	s_cmp_lt_i32 s2, s4
	s_cselect_b32 s14, -1, 0
	.loc	1 14 32 is_stmt 0               ; transpose_2d.py:14:32
	s_wait_alu depctr_sa_sdst(0)
	s_and_b32 s15, s14, vcc_lo
	.loc	1 15 16 is_stmt 1               ; transpose_2d.py:15:16
	s_wait_alu depctr_sa_sdst(0)
	s_and_saveexec_b32 s14, s15
	s_cbranch_execz .LBB0_10
; %bb.9:
	.loc	1 15 39 is_stmt 0               ; transpose_2d.py:15:39
	s_mul_i32 s18, s6, s2
	s_delay_alu instid0(SALU_CYCLE_1) | instskip(NEXT) | instid1(SALU_CYCLE_1)
	.loc	1 15 25                         ; transpose_2d.py:15:25
	s_ashr_i32 s19, s18, 31
	s_lshl_b64 s[18:19], s[18:19], 2
	s_delay_alu instid0(SALU_CYCLE_1) | instskip(NEXT) | instid1(SALU_CYCLE_1)
	s_add_nc_u64 s[18:19], s[8:9], s[18:19]
	.loc	1 15 51                         ; transpose_2d.py:15:51
	v_add_co_u32 v10, s2, s18, v1
	s_wait_alu depctr_va_sdst(0)
	v_add_co_ci_u32_e64 v11, null, s19, v2, s2
	.loc	1 15 16                         ; transpose_2d.py:15:16
	global_load_b32 v10, v[10:11], off
.LBB0_10:
	.loc	1 0 16                          ; transpose_2d.py:0:16
	s_wait_alu depctr_sa_sdst(0)
	s_or_b32 exec_lo, exec_lo, s14
	.loc	1 12 40 is_stmt 1               ; transpose_2d.py:12:40
	s_or_b32 s14, s26, 20
	.loc	1 12 27 is_stmt 0               ; transpose_2d.py:12:27
	s_wait_alu depctr_sa_sdst(0)
	s_or_b32 s2, s14, s16
	.loc	1 14 26 is_stmt 1               ; transpose_2d.py:14:26
	s_wait_alu depctr_sa_sdst(0)
	s_cmp_lt_i32 s2, s4
	s_cselect_b32 s15, -1, 0
	.loc	1 14 32 is_stmt 0               ; transpose_2d.py:14:32
	s_wait_alu depctr_sa_sdst(0)
	s_and_b32 s17, s15, vcc_lo
	s_delay_alu instid0(SALU_CYCLE_1)
	.loc	1 15 16 is_stmt 1               ; transpose_2d.py:15:16
	s_and_saveexec_b32 s15, s17
	s_cbranch_execz .LBB0_12
; %bb.11:
	.loc	1 15 39 is_stmt 0               ; transpose_2d.py:15:39
	s_mul_i32 s18, s6, s2
	.loc	1 15 25                         ; transpose_2d.py:15:25
	s_wait_alu depctr_sa_sdst(0)
	s_ashr_i32 s19, s18, 31
	s_wait_alu depctr_sa_sdst(0)
	s_lshl_b64 s[18:19], s[18:19], 2
	s_wait_alu depctr_sa_sdst(0)
	s_add_nc_u64 s[18:19], s[8:9], s[18:19]
	.loc	1 15 51                         ; transpose_2d.py:15:51
	s_wait_alu depctr_sa_sdst(0)
	v_add_co_u32 v11, s2, s18, v1
	s_wait_alu depctr_va_sdst(0)
	v_add_co_ci_u32_e64 v12, null, s19, v2, s2
	.loc	1 15 16                         ; transpose_2d.py:15:16
	global_load_b32 v9, v[11:12], off
.LBB0_12:
	.loc	1 0 16                          ; transpose_2d.py:0:16
	s_wait_alu depctr_sa_sdst(0)
	s_or_b32 exec_lo, exec_lo, s15
	.loc	1 12 40 is_stmt 1               ; transpose_2d.py:12:40
	s_or_b32 s15, s26, 24
	v_dual_mov_b32 v11, 0 :: v_dual_mov_b32 v12, 0
	.loc	1 12 27 is_stmt 0               ; transpose_2d.py:12:27
	s_wait_alu depctr_sa_sdst(0)
	s_or_b32 s2, s15, s16
	.loc	1 14 26 is_stmt 1               ; transpose_2d.py:14:26
	s_wait_alu depctr_sa_sdst(0)
	s_cmp_lt_i32 s2, s4
	s_cselect_b32 s17, -1, 0
	s_delay_alu instid0(SALU_CYCLE_1)
	.loc	1 14 32 is_stmt 0               ; transpose_2d.py:14:32
	s_and_b32 s18, s17, vcc_lo
	.loc	1 15 16 is_stmt 1               ; transpose_2d.py:15:16
	s_wait_alu depctr_sa_sdst(0)
	s_and_saveexec_b32 s17, s18
	s_cbranch_execz .LBB0_14
; %bb.13:
	.loc	1 15 39 is_stmt 0               ; transpose_2d.py:15:39
	s_mul_i32 s18, s6, s2
	.loc	1 15 25                         ; transpose_2d.py:15:25
	s_wait_alu depctr_sa_sdst(0)
	s_ashr_i32 s19, s18, 31
	s_wait_alu depctr_sa_sdst(0)
	s_lshl_b64 s[18:19], s[18:19], 2
	s_wait_alu depctr_sa_sdst(0)
	s_add_nc_u64 s[18:19], s[8:9], s[18:19]
	.loc	1 15 51                         ; transpose_2d.py:15:51
	s_wait_alu depctr_sa_sdst(0)
	v_add_co_u32 v12, s2, s18, v1
	s_wait_alu depctr_va_sdst(0)
	v_add_co_ci_u32_e64 v13, null, s19, v2, s2
	.loc	1 15 16                         ; transpose_2d.py:15:16
	global_load_b32 v12, v[12:13], off
.LBB0_14:
	.loc	1 0 16                          ; transpose_2d.py:0:16
	s_or_b32 exec_lo, exec_lo, s17
	.loc	1 12 40 is_stmt 1               ; transpose_2d.py:12:40
	s_or_b32 s17, s26, 28
	s_delay_alu instid0(SALU_CYCLE_1)
	.loc	1 12 27 is_stmt 0               ; transpose_2d.py:12:27
	s_or_b32 s2, s17, s16
	.loc	1 14 26 is_stmt 1               ; transpose_2d.py:14:26
	s_wait_alu depctr_sa_sdst(0)
	s_cmp_lt_i32 s2, s4
	s_cselect_b32 s18, -1, 0
	.loc	1 14 32 is_stmt 0               ; transpose_2d.py:14:32
	s_wait_alu depctr_sa_sdst(0)
	s_and_b32 s19, s18, vcc_lo
	.loc	1 15 16 is_stmt 1               ; transpose_2d.py:15:16
	s_wait_alu depctr_sa_sdst(0)
	s_and_saveexec_b32 s18, s19
	s_cbranch_execz .LBB0_16
; %bb.15:
	.loc	1 15 39 is_stmt 0               ; transpose_2d.py:15:39
	s_mul_i32 s20, s6, s2
	s_delay_alu instid0(SALU_CYCLE_1) | instskip(NEXT) | instid1(SALU_CYCLE_1)
	.loc	1 15 25                         ; transpose_2d.py:15:25
	s_ashr_i32 s21, s20, 31
	s_lshl_b64 s[20:21], s[20:21], 2
	s_delay_alu instid0(SALU_CYCLE_1) | instskip(NEXT) | instid1(SALU_CYCLE_1)
	s_add_nc_u64 s[20:21], s[8:9], s[20:21]
	.loc	1 15 51                         ; transpose_2d.py:15:51
	v_add_co_u32 v13, s2, s20, v1
	s_wait_alu depctr_va_sdst(0)
	v_add_co_ci_u32_e64 v14, null, s21, v2, s2
	.loc	1 15 16                         ; transpose_2d.py:15:16
	global_load_b32 v11, v[13:14], off
.LBB0_16:
	.loc	1 0 16                          ; transpose_2d.py:0:16
	s_wait_alu depctr_sa_sdst(0)
	s_or_b32 exec_lo, exec_lo, s18
	.loc	1 12 40 is_stmt 1               ; transpose_2d.py:12:40
	s_or_b32 s18, s26, 32
	v_dual_mov_b32 v13, 0 :: v_dual_mov_b32 v14, 0
	.loc	1 12 27 is_stmt 0               ; transpose_2d.py:12:27
	s_wait_alu depctr_sa_sdst(0)
	s_or_b32 s2, s18, s16
	.loc	1 14 26 is_stmt 1               ; transpose_2d.py:14:26
	s_wait_alu depctr_sa_sdst(0)
	s_cmp_lt_i32 s2, s4
	s_cselect_b32 s19, -1, 0
	.loc	1 14 32 is_stmt 0               ; transpose_2d.py:14:32
	s_wait_alu depctr_sa_sdst(0)
	s_and_b32 s20, s19, vcc_lo
	.loc	1 15 16 is_stmt 1               ; transpose_2d.py:15:16
	s_wait_alu depctr_sa_sdst(0)
	s_and_saveexec_b32 s19, s20
	s_cbranch_execz .LBB0_18
; %bb.17:
	.loc	1 15 39 is_stmt 0               ; transpose_2d.py:15:39
	s_mul_i32 s20, s6, s2
	.loc	1 15 25                         ; transpose_2d.py:15:25
	s_wait_alu depctr_sa_sdst(0)
	s_ashr_i32 s21, s20, 31
	s_wait_alu depctr_sa_sdst(0)
	s_lshl_b64 s[20:21], s[20:21], 2
	s_wait_alu depctr_sa_sdst(0)
	s_add_nc_u64 s[20:21], s[8:9], s[20:21]
	.loc	1 15 51                         ; transpose_2d.py:15:51
	s_wait_alu depctr_sa_sdst(0)
	v_add_co_u32 v14, s2, s20, v1
	s_wait_alu depctr_va_sdst(0)
	v_add_co_ci_u32_e64 v15, null, s21, v2, s2
	.loc	1 15 16                         ; transpose_2d.py:15:16
	global_load_b32 v14, v[14:15], off
.LBB0_18:
	.loc	1 0 16                          ; transpose_2d.py:0:16
	s_wait_alu depctr_sa_sdst(0)
	s_or_b32 exec_lo, exec_lo, s19
	.loc	1 12 40 is_stmt 1               ; transpose_2d.py:12:40
	s_or_b32 s19, s26, 36
	.loc	1 12 27 is_stmt 0               ; transpose_2d.py:12:27
	s_wait_alu depctr_sa_sdst(0)
	s_or_b32 s2, s19, s16
	.loc	1 14 26 is_stmt 1               ; transpose_2d.py:14:26
	s_wait_alu depctr_sa_sdst(0)
	s_cmp_lt_i32 s2, s4
	s_cselect_b32 s20, -1, 0
	.loc	1 14 32 is_stmt 0               ; transpose_2d.py:14:32
	s_wait_alu depctr_sa_sdst(0)
	s_and_b32 s21, s20, vcc_lo
	.loc	1 15 16 is_stmt 1               ; transpose_2d.py:15:16
	s_wait_alu depctr_sa_sdst(0)
	s_and_saveexec_b32 s20, s21
	s_cbranch_execz .LBB0_20
; %bb.19:
	.loc	1 15 39 is_stmt 0               ; transpose_2d.py:15:39
	s_mul_i32 s22, s6, s2
	s_delay_alu instid0(SALU_CYCLE_1) | instskip(NEXT) | instid1(SALU_CYCLE_1)
	.loc	1 15 25                         ; transpose_2d.py:15:25
	s_ashr_i32 s23, s22, 31
	s_lshl_b64 s[22:23], s[22:23], 2
	s_delay_alu instid0(SALU_CYCLE_1) | instskip(NEXT) | instid1(SALU_CYCLE_1)
	s_add_nc_u64 s[22:23], s[8:9], s[22:23]
	.loc	1 15 51                         ; transpose_2d.py:15:51
	v_add_co_u32 v15, s2, s22, v1
	s_wait_alu depctr_va_sdst(0)
	v_add_co_ci_u32_e64 v16, null, s23, v2, s2
	.loc	1 15 16                         ; transpose_2d.py:15:16
	global_load_b32 v13, v[15:16], off
.LBB0_20:
	.loc	1 0 16                          ; transpose_2d.py:0:16
	s_wait_alu depctr_sa_sdst(0)
	s_or_b32 exec_lo, exec_lo, s20
	.loc	1 12 40 is_stmt 1               ; transpose_2d.py:12:40
	s_or_b32 s20, s26, 40
	v_dual_mov_b32 v15, 0 :: v_dual_mov_b32 v16, 0
	.loc	1 12 27 is_stmt 0               ; transpose_2d.py:12:27
	s_wait_alu depctr_sa_sdst(0)
	s_or_b32 s2, s20, s16
	.loc	1 14 26 is_stmt 1               ; transpose_2d.py:14:26
	s_wait_alu depctr_sa_sdst(0)
	s_cmp_lt_i32 s2, s4
	s_cselect_b32 s21, -1, 0
	.loc	1 14 32 is_stmt 0               ; transpose_2d.py:14:32
	s_wait_alu depctr_sa_sdst(0)
	s_and_b32 s22, s21, vcc_lo
	.loc	1 15 16 is_stmt 1               ; transpose_2d.py:15:16
	s_wait_alu depctr_sa_sdst(0)
	s_and_saveexec_b32 s21, s22
	s_cbranch_execz .LBB0_22
; %bb.21:
	.loc	1 15 39 is_stmt 0               ; transpose_2d.py:15:39
	s_mul_i32 s22, s6, s2
	.loc	1 15 25                         ; transpose_2d.py:15:25
	s_wait_alu depctr_sa_sdst(0)
	s_ashr_i32 s23, s22, 31
	s_wait_alu depctr_sa_sdst(0)
	s_lshl_b64 s[22:23], s[22:23], 2
	s_wait_alu depctr_sa_sdst(0)
	s_add_nc_u64 s[22:23], s[8:9], s[22:23]
	.loc	1 15 51                         ; transpose_2d.py:15:51
	s_wait_alu depctr_sa_sdst(0)
	v_add_co_u32 v16, s2, s22, v1
	s_wait_alu depctr_va_sdst(0)
	v_add_co_ci_u32_e64 v17, null, s23, v2, s2
	.loc	1 15 16                         ; transpose_2d.py:15:16
	global_load_b32 v16, v[16:17], off
.LBB0_22:
	.loc	1 0 16                          ; transpose_2d.py:0:16
	s_wait_alu depctr_sa_sdst(0)
	s_or_b32 exec_lo, exec_lo, s21
	.loc	1 12 40 is_stmt 1               ; transpose_2d.py:12:40
	s_or_b32 s21, s26, 44
	.loc	1 12 27 is_stmt 0               ; transpose_2d.py:12:27
	s_wait_alu depctr_sa_sdst(0)
	s_or_b32 s2, s21, s16
	.loc	1 14 26 is_stmt 1               ; transpose_2d.py:14:26
	s_wait_alu depctr_sa_sdst(0)
	s_cmp_lt_i32 s2, s4
	s_cselect_b32 s22, -1, 0
	.loc	1 14 32 is_stmt 0               ; transpose_2d.py:14:32
	s_wait_alu depctr_sa_sdst(0)
	s_and_b32 s23, s22, vcc_lo
	.loc	1 15 16 is_stmt 1               ; transpose_2d.py:15:16
	s_wait_alu depctr_sa_sdst(0)
	s_and_saveexec_b32 s22, s23
	s_cbranch_execz .LBB0_24
; %bb.23:
	.loc	1 15 39 is_stmt 0               ; transpose_2d.py:15:39
	s_mul_i32 s24, s6, s2
	s_delay_alu instid0(SALU_CYCLE_1) | instskip(NEXT) | instid1(SALU_CYCLE_1)
	.loc	1 15 25                         ; transpose_2d.py:15:25
	s_ashr_i32 s25, s24, 31
	s_lshl_b64 s[24:25], s[24:25], 2
	s_delay_alu instid0(SALU_CYCLE_1) | instskip(NEXT) | instid1(SALU_CYCLE_1)
	s_add_nc_u64 s[24:25], s[8:9], s[24:25]
	.loc	1 15 51                         ; transpose_2d.py:15:51
	v_add_co_u32 v17, s2, s24, v1
	s_wait_alu depctr_va_sdst(0)
	v_add_co_ci_u32_e64 v18, null, s25, v2, s2
	.loc	1 15 16                         ; transpose_2d.py:15:16
	global_load_b32 v15, v[17:18], off
.LBB0_24:
	.loc	1 0 16                          ; transpose_2d.py:0:16
	s_wait_alu depctr_sa_sdst(0)
	s_or_b32 exec_lo, exec_lo, s22
	.loc	1 12 40 is_stmt 1               ; transpose_2d.py:12:40
	s_or_b32 s22, s26, 48
	v_dual_mov_b32 v17, 0 :: v_dual_mov_b32 v18, 0
	.loc	1 12 27 is_stmt 0               ; transpose_2d.py:12:27
	s_wait_alu depctr_sa_sdst(0)
	s_or_b32 s2, s22, s16
	.loc	1 14 26 is_stmt 1               ; transpose_2d.py:14:26
	s_wait_alu depctr_sa_sdst(0)
	s_cmp_lt_i32 s2, s4
	s_cselect_b32 s23, -1, 0
	.loc	1 14 32 is_stmt 0               ; transpose_2d.py:14:32
	s_wait_alu depctr_sa_sdst(0)
	s_and_b32 s24, s23, vcc_lo
	.loc	1 15 16 is_stmt 1               ; transpose_2d.py:15:16
	s_wait_alu depctr_sa_sdst(0)
	s_and_saveexec_b32 s23, s24
	s_cbranch_execz .LBB0_26
; %bb.25:
	.loc	1 15 39 is_stmt 0               ; transpose_2d.py:15:39
	s_mul_i32 s24, s6, s2
	.loc	1 15 25                         ; transpose_2d.py:15:25
	s_wait_alu depctr_sa_sdst(0)
	s_ashr_i32 s25, s24, 31
	s_wait_alu depctr_sa_sdst(0)
	s_lshl_b64 s[24:25], s[24:25], 2
	s_wait_alu depctr_sa_sdst(0)
	s_add_nc_u64 s[24:25], s[8:9], s[24:25]
	.loc	1 15 51                         ; transpose_2d.py:15:51
	s_wait_alu depctr_sa_sdst(0)
	v_add_co_u32 v18, s2, s24, v1
	s_wait_alu depctr_va_sdst(0)
	v_add_co_ci_u32_e64 v19, null, s25, v2, s2
	.loc	1 15 16                         ; transpose_2d.py:15:16
	global_load_b32 v18, v[18:19], off
.LBB0_26:
	.loc	1 0 16                          ; transpose_2d.py:0:16
	s_wait_alu depctr_sa_sdst(0)
	s_or_b32 exec_lo, exec_lo, s23
	.loc	1 12 40 is_stmt 1               ; transpose_2d.py:12:40
	s_or_b32 s23, s26, 52
	.loc	1 12 27 is_stmt 0               ; transpose_2d.py:12:27
	s_wait_alu depctr_sa_sdst(0)
	s_or_b32 s2, s23, s16
	.loc	1 14 26 is_stmt 1               ; transpose_2d.py:14:26
	s_wait_alu depctr_sa_sdst(0)
	s_cmp_lt_i32 s2, s4
	s_cselect_b32 s24, -1, 0
	.loc	1 14 32 is_stmt 0               ; transpose_2d.py:14:32
	s_wait_alu depctr_sa_sdst(0)
	s_and_b32 s25, s24, vcc_lo
	.loc	1 15 16 is_stmt 1               ; transpose_2d.py:15:16
	s_wait_alu depctr_sa_sdst(0)
	s_and_saveexec_b32 s24, s25
	s_cbranch_execz .LBB0_28
; %bb.27:
	.loc	1 15 39 is_stmt 0               ; transpose_2d.py:15:39
	s_mul_i32 s28, s6, s2
	s_delay_alu instid0(SALU_CYCLE_1) | instskip(NEXT) | instid1(SALU_CYCLE_1)
	.loc	1 15 25                         ; transpose_2d.py:15:25
	s_ashr_i32 s29, s28, 31
	s_lshl_b64 s[28:29], s[28:29], 2
	s_delay_alu instid0(SALU_CYCLE_1) | instskip(NEXT) | instid1(SALU_CYCLE_1)
	s_add_nc_u64 s[28:29], s[8:9], s[28:29]
	.loc	1 15 51                         ; transpose_2d.py:15:51
	v_add_co_u32 v19, s2, s28, v1
	s_wait_alu depctr_va_sdst(0)
	v_add_co_ci_u32_e64 v20, null, s29, v2, s2
	.loc	1 15 16                         ; transpose_2d.py:15:16
	global_load_b32 v17, v[19:20], off
.LBB0_28:
	.loc	1 0 16                          ; transpose_2d.py:0:16
	s_wait_alu depctr_sa_sdst(0)
	s_or_b32 exec_lo, exec_lo, s24
	.loc	1 12 40 is_stmt 1               ; transpose_2d.py:12:40
	s_or_b32 s24, s26, 56
	v_dual_mov_b32 v19, 0 :: v_dual_mov_b32 v20, 0
	.loc	1 12 27 is_stmt 0               ; transpose_2d.py:12:27
	s_wait_alu depctr_sa_sdst(0)
	s_or_b32 s2, s24, s16
	.loc	1 14 26 is_stmt 1               ; transpose_2d.py:14:26
	s_wait_alu depctr_sa_sdst(0)
	s_cmp_lt_i32 s2, s4
	s_cselect_b32 s25, -1, 0
	.loc	1 14 32 is_stmt 0               ; transpose_2d.py:14:32
	s_wait_alu depctr_sa_sdst(0)
	s_and_b32 s28, s25, vcc_lo
	.loc	1 15 16 is_stmt 1               ; transpose_2d.py:15:16
	s_wait_alu depctr_sa_sdst(0)
	s_and_saveexec_b32 s25, s28
	s_cbranch_execz .LBB0_30
; %bb.29:
	.loc	1 15 39 is_stmt 0               ; transpose_2d.py:15:39
	s_mul_i32 s28, s6, s2
	.loc	1 15 25                         ; transpose_2d.py:15:25
	s_wait_alu depctr_sa_sdst(0)
	s_ashr_i32 s29, s28, 31
	s_wait_alu depctr_sa_sdst(0)
	s_lshl_b64 s[28:29], s[28:29], 2
	s_wait_alu depctr_sa_sdst(0)
	s_add_nc_u64 s[28:29], s[8:9], s[28:29]
	.loc	1 15 51                         ; transpose_2d.py:15:51
	s_wait_alu depctr_sa_sdst(0)
	v_add_co_u32 v20, s2, s28, v1
	s_wait_alu depctr_va_sdst(0)
	v_add_co_ci_u32_e64 v21, null, s29, v2, s2
	.loc	1 15 16                         ; transpose_2d.py:15:16
	global_load_b32 v20, v[20:21], off
.LBB0_30:
	.loc	1 0 16                          ; transpose_2d.py:0:16
	s_wait_alu depctr_sa_sdst(0)
	s_or_b32 exec_lo, exec_lo, s25
	s_load_b32 s28, s[0:1], 0x24
	.loc	1 12 40 is_stmt 1               ; transpose_2d.py:12:40
	s_or_b32 s25, s26, 60
	s_and_b32 s2, s27, 0xc0
	.loc	1 12 27 is_stmt 0               ; transpose_2d.py:12:27
	s_wait_alu depctr_sa_sdst(0)
	s_or_b32 s29, s25, s16
	.loc	1 14 26 is_stmt 1               ; transpose_2d.py:14:26
	s_wait_alu depctr_sa_sdst(0)
	s_cmp_lt_i32 s29, s4
	s_cselect_b32 s27, -1, 0
	.loc	1 14 32 is_stmt 0               ; transpose_2d.py:14:32
	s_wait_alu depctr_sa_sdst(0)
	s_and_b32 s30, s27, vcc_lo
	s_delay_alu instid0(SALU_CYCLE_1)
	.loc	1 15 16 is_stmt 1               ; transpose_2d.py:15:16
	s_and_saveexec_b32 s27, s30
	s_cbranch_execz .LBB0_32
; %bb.31:
	.loc	1 15 39 is_stmt 0               ; transpose_2d.py:15:39
	s_mul_i32 s30, s6, s29
	s_delay_alu instid0(SALU_CYCLE_1) | instskip(NEXT) | instid1(SALU_CYCLE_1)
	.loc	1 15 25                         ; transpose_2d.py:15:25
	s_ashr_i32 s31, s30, 31
	s_lshl_b64 s[30:31], s[30:31], 2
	s_delay_alu instid0(SALU_CYCLE_1) | instskip(NEXT) | instid1(SALU_CYCLE_1)
	s_add_nc_u64 s[8:9], s[8:9], s[30:31]
	.loc	1 15 51                         ; transpose_2d.py:15:51
	v_add_co_u32 v1, vcc_lo, s8, v1
	s_delay_alu instid0(VALU_DEP_1)
	v_add_co_ci_u32_e64 v2, null, s9, v2, vcc_lo
	.loc	1 15 16                         ; transpose_2d.py:15:16
	global_load_b32 v19, v[1:2], off
.LBB0_32:
	.loc	1 0 16                          ; transpose_2d.py:0:16
	s_wait_alu depctr_sa_sdst(0)
	s_or_b32 exec_lo, exec_lo, s27
	.loc	1 19 13 is_stmt 1               ; transpose_2d.py:19:13
	v_lshlrev_b32_e32 v1, 5, v0
	v_and_b32_e32 v0, 28, v0
	.loc	1 13 27                         ; transpose_2d.py:13:27
	s_or_b32 s6, s26, s10
	.loc	1 19 13                         ; transpose_2d.py:19:13
	v_lshlrev_b32_e32 v5, 9, v5
	.loc	1 17 30                         ; transpose_2d.py:17:30
	s_wait_alu depctr_sa_sdst(0)
	s_cmp_lt_i32 s6, s5
	.loc	1 19 13                         ; transpose_2d.py:19:13
	v_and_b32_e32 v1, 0x60, v1
	.loc	1 17 30                         ; transpose_2d.py:17:30
	s_cselect_b32 s8, -1, 0
	.loc	1 19 13                         ; transpose_2d.py:19:13
	s_lshr_b32 s2, s2, 1
	s_lshl_b32 s9, s3, 7
	s_lshl_b32 s3, s3, 8
	v_or_b32_e32 v2, v1, v0
	s_wait_alu depctr_sa_sdst(0)
	s_and_b32 s9, s9, 0x80
	v_and_or_b32 v1, 0x700, s3, v1
	v_or_b32_e32 v0, s2, v0
	v_xor_b32_e32 v2, s2, v2
	s_clause 0x1
	s_load_b64 s[2:3], s[0:1], 0x8
	s_load_b32 s1, s[0:1], 0x20
	v_xor_b32_e32 v0, v0, v1
	v_or3_b32 v2, v5, s9, v2
	s_delay_alu instid0(VALU_DEP_2) | instskip(NEXT) | instid1(VALU_DEP_2)
	v_xad_u32 v1, v0, 4, 0
	v_add_nc_u32_e32 v5, 0, v2
	v_xad_u32 v21, v2, 4, 0
	v_xad_u32 v22, v2, 8, 0
	;; [unrolled: 1-line block ×7, first 2 shown]
	s_wait_loadcnt 0x0
	ds_store_2addr_stride64_b32 v5, v6, v14 offset1:1
	ds_store_2addr_stride64_b32 v21, v4, v13 offset1:1
	;; [unrolled: 1-line block ×8, first 2 shown]
	s_wait_dscnt 0x0
	s_barrier_signal -1
	v_xad_u32 v2, v0, 8, 0
	v_add_nc_u32_e32 v17, 0, v0
	v_add_nc_u32_e32 v1, 0x800, v1
	.loc	1 12 27                         ; transpose_2d.py:12:27
	v_or_b32_e32 v18, s16, v3
	.loc	1 19 13                         ; transpose_2d.py:19:13
	v_xad_u32 v3, v0, 20, 0
	v_add_nc_u32_e32 v2, 0x1000, v2
	v_xad_u32 v4, v0, 24, 0
	s_delay_alu instid0(VALU_DEP_4) | instskip(NEXT) | instid1(VALU_DEP_4)
	.loc	1 17 50                         ; transpose_2d.py:17:50
	v_cmp_gt_i32_e32 vcc_lo, s4, v18
	.loc	1 19 13                         ; transpose_2d.py:19:13
	v_add_nc_u32_e32 v3, 0x2800, v3
	s_delay_alu instid0(VALU_DEP_3)
	v_add_nc_u32_e32 v4, 0x3000, v4
	.loc	1 17 36                         ; transpose_2d.py:17:36
	s_and_b32 s0, vcc_lo, s8
	.loc	1 19 13                         ; transpose_2d.py:19:13
	s_barrier_wait -1
	global_inv scope:SCOPE_SE
	ds_load_b32 v16, v17 offset:128
	ds_load_2addr_b32 v[14:15], v1 offset1:32
	ds_load_2addr_b32 v[12:13], v2 offset1:32
	v_xad_u32 v1, v0, 12, 0
	v_xad_u32 v2, v0, 16, 0
	;; [unrolled: 1-line block ×3, first 2 shown]
	s_delay_alu instid0(VALU_DEP_3) | instskip(NEXT) | instid1(VALU_DEP_3)
	v_add_nc_u32_e32 v1, 0x1800, v1
	v_add_nc_u32_e32 v2, 0x2000, v2
	s_delay_alu instid0(VALU_DEP_3)
	v_add_nc_u32_e32 v0, 0x3800, v0
	ds_load_2addr_b32 v[10:11], v1 offset1:32
	ds_load_2addr_b32 v[8:9], v2 offset1:32
	;; [unrolled: 1-line block ×5, first 2 shown]
	.loc	1 18 63                         ; transpose_2d.py:18:63
	s_wait_kmcnt 0x0
	v_mul_lo_u32 v2, s28, v18
	s_delay_alu instid0(VALU_DEP_1) | instskip(NEXT) | instid1(VALU_DEP_1)
	.loc	1 18 49 is_stmt 0               ; transpose_2d.py:18:49
	v_ashrrev_i32_e32 v3, 31, v2
	v_lshlrev_b64_e32 v[2:3], 2, v[2:3]
	.loc	1 19 13 is_stmt 1               ; transpose_2d.py:19:13
	s_and_saveexec_b32 s4, s0
	s_cbranch_execz .LBB0_34
; %bb.33:
	ds_load_b32 v19, v17
	s_mul_i32 s8, s1, s6
	s_wait_alu depctr_sa_sdst(0)
	s_ashr_i32 s9, s8, 31
	s_wait_alu depctr_sa_sdst(0)
	s_lshl_b64 s[8:9], s[8:9], 2
	s_wait_alu depctr_sa_sdst(0)
	s_add_nc_u64 s[8:9], s[2:3], s[8:9]
	s_wait_alu depctr_sa_sdst(0)
	v_add_co_u32 v17, s0, s8, v2
	s_delay_alu instid0(VALU_DEP_1)
	v_add_co_ci_u32_e64 v18, null, s9, v3, s0
	s_wait_dscnt 0x0
	global_store_b32 v[17:18], v19, off
.LBB0_34:
	.loc	1 0 13 is_stmt 0                ; transpose_2d.py:0:13
	s_wait_alu depctr_sa_sdst(0)
	s_or_b32 exec_lo, exec_lo, s4
	.loc	1 13 27 is_stmt 1               ; transpose_2d.py:13:27
	s_or_b32 s0, s7, s10
	.loc	1 17 30                         ; transpose_2d.py:17:30
	s_wait_alu depctr_sa_sdst(0)
	s_cmp_lt_i32 s0, s5
	s_cselect_b32 s4, -1, 0
	.loc	1 17 36 is_stmt 0               ; transpose_2d.py:17:36
	s_wait_alu depctr_sa_sdst(0)
	s_and_b32 s6, vcc_lo, s4
	.loc	1 19 13 is_stmt 1               ; transpose_2d.py:19:13
	s_wait_alu depctr_sa_sdst(0)
	s_and_saveexec_b32 s4, s6
	s_cbranch_execz .LBB0_36
; %bb.35:
	.loc	1 18 37                         ; transpose_2d.py:18:37
	s_mul_i32 s6, s1, s0
	.loc	1 18 23 is_stmt 0               ; transpose_2d.py:18:23
	s_wait_alu depctr_sa_sdst(0)
	s_ashr_i32 s7, s6, 31
	s_wait_alu depctr_sa_sdst(0)
	s_lshl_b64 s[6:7], s[6:7], 2
	s_wait_alu depctr_sa_sdst(0)
	s_add_nc_u64 s[6:7], s[2:3], s[6:7]
	.loc	1 18 49                         ; transpose_2d.py:18:49
	s_wait_alu depctr_sa_sdst(0)
	v_add_co_u32 v17, s0, s6, v2
	s_wait_alu depctr_va_sdst(0)
	v_add_co_ci_u32_e64 v18, null, s7, v3, s0
	.loc	1 19 13 is_stmt 1               ; transpose_2d.py:19:13
	s_wait_dscnt 0x6
	global_store_b32 v[17:18], v14, off
.LBB0_36:
	.loc	1 0 13 is_stmt 0                ; transpose_2d.py:0:13
	s_wait_alu depctr_sa_sdst(0)
	s_or_b32 exec_lo, exec_lo, s4
	.loc	1 13 27 is_stmt 1               ; transpose_2d.py:13:27
	s_or_b32 s0, s11, s10
	.loc	1 17 30                         ; transpose_2d.py:17:30
	s_wait_alu depctr_sa_sdst(0)
	s_cmp_lt_i32 s0, s5
	s_cselect_b32 s4, -1, 0
	.loc	1 17 36 is_stmt 0               ; transpose_2d.py:17:36
	s_wait_alu depctr_sa_sdst(0)
	s_and_b32 s6, vcc_lo, s4
	.loc	1 19 13 is_stmt 1               ; transpose_2d.py:19:13
	s_wait_alu depctr_sa_sdst(0)
	s_and_saveexec_b32 s4, s6
	s_cbranch_execz .LBB0_38
; %bb.37:
	.loc	1 18 37                         ; transpose_2d.py:18:37
	s_mul_i32 s6, s1, s0
	.loc	1 18 23 is_stmt 0               ; transpose_2d.py:18:23
	s_wait_alu depctr_sa_sdst(0)
	s_ashr_i32 s7, s6, 31
	s_wait_alu depctr_sa_sdst(0)
	s_lshl_b64 s[6:7], s[6:7], 2
	s_wait_alu depctr_sa_sdst(0)
	s_add_nc_u64 s[6:7], s[2:3], s[6:7]
	.loc	1 18 49                         ; transpose_2d.py:18:49
	s_wait_alu depctr_sa_sdst(0)
	v_add_co_u32 v17, s0, s6, v2
	s_wait_alu depctr_va_sdst(0)
	v_add_co_ci_u32_e64 v18, null, s7, v3, s0
	.loc	1 19 13 is_stmt 1               ; transpose_2d.py:19:13
	s_wait_dscnt 0x5
	global_store_b32 v[17:18], v12, off
.LBB0_38:
	;; [unrolled: 35-line block ×8, first 2 shown]
	.loc	1 0 13 is_stmt 0                ; transpose_2d.py:0:13
	s_wait_alu depctr_sa_sdst(0)
	s_or_b32 exec_lo, exec_lo, s4
	.loc	1 13 27 is_stmt 1               ; transpose_2d.py:13:27
	s_or_b32 s0, s19, s10
	.loc	1 17 30                         ; transpose_2d.py:17:30
	s_wait_alu depctr_sa_sdst(0)
	s_cmp_lt_i32 s0, s5
	s_cselect_b32 s4, -1, 0
	.loc	1 17 36 is_stmt 0               ; transpose_2d.py:17:36
	s_wait_alu depctr_sa_sdst(0)
	s_and_b32 s6, vcc_lo, s4
	.loc	1 19 13 is_stmt 1               ; transpose_2d.py:19:13
	s_wait_alu depctr_sa_sdst(0)
	s_and_saveexec_b32 s4, s6
	s_cbranch_execz .LBB0_52
; %bb.51:
	.loc	1 18 37                         ; transpose_2d.py:18:37
	s_mul_i32 s6, s1, s0
	.loc	1 18 23 is_stmt 0               ; transpose_2d.py:18:23
	s_wait_alu depctr_sa_sdst(0)
	s_ashr_i32 s7, s6, 31
	s_wait_alu depctr_sa_sdst(0)
	s_lshl_b64 s[6:7], s[6:7], 2
	s_wait_alu depctr_sa_sdst(0)
	s_add_nc_u64 s[6:7], s[2:3], s[6:7]
	.loc	1 18 49                         ; transpose_2d.py:18:49
	s_wait_dscnt 0x7
	s_wait_alu depctr_sa_sdst(0)
	v_add_co_u32 v16, s0, s6, v2
	s_wait_alu depctr_va_sdst(0)
	v_add_co_ci_u32_e64 v17, null, s7, v3, s0
	.loc	1 19 13 is_stmt 1               ; transpose_2d.py:19:13
	s_wait_dscnt 0x6
	global_store_b32 v[16:17], v15, off
.LBB0_52:
	.loc	1 0 13 is_stmt 0                ; transpose_2d.py:0:13
	s_wait_alu depctr_sa_sdst(0)
	s_or_b32 exec_lo, exec_lo, s4
	.loc	1 13 27 is_stmt 1               ; transpose_2d.py:13:27
	s_or_b32 s0, s20, s10
	.loc	1 17 30                         ; transpose_2d.py:17:30
	s_wait_alu depctr_sa_sdst(0)
	s_cmp_lt_i32 s0, s5
	s_cselect_b32 s4, -1, 0
	.loc	1 17 36 is_stmt 0               ; transpose_2d.py:17:36
	s_wait_alu depctr_sa_sdst(0)
	s_and_b32 s6, vcc_lo, s4
	.loc	1 19 13 is_stmt 1               ; transpose_2d.py:19:13
	s_wait_alu depctr_sa_sdst(0)
	s_and_saveexec_b32 s4, s6
	s_cbranch_execz .LBB0_54
; %bb.53:
	.loc	1 18 37                         ; transpose_2d.py:18:37
	s_mul_i32 s6, s1, s0
	.loc	1 18 23 is_stmt 0               ; transpose_2d.py:18:23
	s_wait_alu depctr_sa_sdst(0)
	s_ashr_i32 s7, s6, 31
	s_wait_alu depctr_sa_sdst(0)
	s_lshl_b64 s[6:7], s[6:7], 2
	s_wait_alu depctr_sa_sdst(0)
	s_add_nc_u64 s[6:7], s[2:3], s[6:7]
	.loc	1 18 49                         ; transpose_2d.py:18:49
	s_wait_dscnt 0x6
	s_wait_alu depctr_sa_sdst(0)
	v_add_co_u32 v14, s0, s6, v2
	s_wait_alu depctr_va_sdst(0)
	v_add_co_ci_u32_e64 v15, null, s7, v3, s0
	.loc	1 19 13 is_stmt 1               ; transpose_2d.py:19:13
	s_wait_dscnt 0x5
	global_store_b32 v[14:15], v13, off
.LBB0_54:
	;; [unrolled: 36-line block ×6, first 2 shown]
	.loc	1 0 13 is_stmt 0                ; transpose_2d.py:0:13
	s_wait_alu depctr_sa_sdst(0)
	s_or_b32 exec_lo, exec_lo, s4
	.loc	1 13 27 is_stmt 1               ; transpose_2d.py:13:27
	s_or_b32 s0, s25, s10
	.loc	1 17 30                         ; transpose_2d.py:17:30
	s_wait_alu depctr_sa_sdst(0)
	s_cmp_lt_i32 s0, s5
	s_cselect_b32 s4, -1, 0
	.loc	1 17 36 is_stmt 0               ; transpose_2d.py:17:36
	s_wait_alu depctr_sa_sdst(0)
	s_and_b32 s4, vcc_lo, s4
	.loc	1 19 13 is_stmt 1               ; transpose_2d.py:19:13
	s_wait_alu depctr_sa_sdst(0)
	s_and_saveexec_b32 s5, s4
	s_cbranch_execz .LBB0_64
; %bb.63:
	.loc	1 18 37                         ; transpose_2d.py:18:37
	s_mul_i32 s0, s1, s0
	.loc	1 18 23 is_stmt 0               ; transpose_2d.py:18:23
	s_wait_alu depctr_sa_sdst(0)
	s_ashr_i32 s1, s0, 31
	s_wait_alu depctr_sa_sdst(0)
	s_lshl_b64 s[0:1], s[0:1], 2
	s_wait_alu depctr_sa_sdst(0)
	s_add_nc_u64 s[0:1], s[2:3], s[0:1]
	.loc	1 18 49                         ; transpose_2d.py:18:49
	s_wait_alu depctr_sa_sdst(0)
	v_add_co_u32 v2, vcc_lo, s0, v2
	s_wait_alu depctr_va_vcc(0)
	v_add_co_ci_u32_e64 v3, null, s1, v3, vcc_lo
	.loc	1 19 13 is_stmt 1               ; transpose_2d.py:19:13
	s_wait_dscnt 0x0
	global_store_b32 v[2:3], v1, off
.LBB0_64:
	.loc	1 18 4                          ; transpose_2d.py:18:4
	s_endpgm
.Ltmp1:
	.section	.rodata,"a",@progbits
	.p2align	6, 0x0
	.amdhsa_kernel transpose_kernel
		.amdhsa_group_segment_fixed_size 0
		.amdhsa_private_segment_fixed_size 0
		.amdhsa_kernarg_size 56
		.amdhsa_user_sgpr_count 2
		.amdhsa_user_sgpr_dispatch_ptr 0
		.amdhsa_user_sgpr_queue_ptr 0
		.amdhsa_user_sgpr_kernarg_segment_ptr 1
		.amdhsa_user_sgpr_dispatch_id 0
		.amdhsa_user_sgpr_private_segment_size 0
		.amdhsa_wavefront_size32 1
		.amdhsa_uses_dynamic_stack 0
		.amdhsa_enable_private_segment 0
		.amdhsa_system_sgpr_workgroup_id_x 1
		.amdhsa_system_sgpr_workgroup_id_y 1
		.amdhsa_system_sgpr_workgroup_id_z 1
		.amdhsa_system_sgpr_workgroup_info 0
		.amdhsa_system_vgpr_workitem_id 0
		.amdhsa_next_free_vgpr 27
		.amdhsa_next_free_sgpr 32
		.amdhsa_reserve_vcc 1
		.amdhsa_float_round_mode_32 0
		.amdhsa_float_round_mode_16_64 0
		.amdhsa_float_denorm_mode_32 3
		.amdhsa_float_denorm_mode_16_64 3
		.amdhsa_fp16_overflow 0
		.amdhsa_workgroup_processor_mode 1
		.amdhsa_memory_ordered 1
		.amdhsa_forward_progress 1
		.amdhsa_inst_pref_size 34
		.amdhsa_round_robin_scheduling 0
		.amdhsa_exception_fp_ieee_invalid_op 0
		.amdhsa_exception_fp_denorm_src 0
		.amdhsa_exception_fp_ieee_div_zero 0
		.amdhsa_exception_fp_ieee_overflow 0
		.amdhsa_exception_fp_ieee_underflow 0
		.amdhsa_exception_fp_ieee_inexact 0
		.amdhsa_exception_int_div_zero 0
	.end_amdhsa_kernel
	.text
.Lfunc_end0:
	.size	transpose_kernel, .Lfunc_end0-transpose_kernel
	.cfi_endproc
                                        ; -- End function
	.set transpose_kernel.num_vgpr, 27
	.set transpose_kernel.num_agpr, 0
	.set transpose_kernel.numbered_sgpr, 32
	.set transpose_kernel.num_named_barrier, 0
	.set transpose_kernel.private_seg_size, 0
	.set transpose_kernel.uses_vcc, 1
	.set transpose_kernel.uses_flat_scratch, 0
	.set transpose_kernel.has_dyn_sized_stack, 0
	.set transpose_kernel.has_recursion, 0
	.set transpose_kernel.has_indirect_call, 0
	.section	.AMDGPU.csdata,"",@progbits
; Kernel info:
; codeLenInByte = 4260
; TotalNumSgprs: 34
; NumVgprs: 27
; ScratchSize: 0
; MemoryBound: 0
; FloatMode: 240
; IeeeMode: 1
; LDSByteSize: 0 bytes/workgroup (compile time only)
; SGPRBlocks: 0
; VGPRBlocks: 3
; NumSGPRsForWavesPerEU: 34
; NumVGPRsForWavesPerEU: 27
; Occupancy: 16
; WaveLimiterHint : 0
; COMPUTE_PGM_RSRC2:SCRATCH_EN: 0
; COMPUTE_PGM_RSRC2:USER_SGPR: 2
; COMPUTE_PGM_RSRC2:TRAP_HANDLER: 0
; COMPUTE_PGM_RSRC2:TGID_X_EN: 1
; COMPUTE_PGM_RSRC2:TGID_Y_EN: 1
; COMPUTE_PGM_RSRC2:TGID_Z_EN: 1
; COMPUTE_PGM_RSRC2:TIDIG_COMP_CNT: 0
	.text
	.p2alignl 7, 3214868480
	.fill 96, 4, 3214868480
	.section	.AMDGPU.gpr_maximums,"",@progbits
	.set amdgpu.max_num_vgpr, 0
	.set amdgpu.max_num_agpr, 0
	.set amdgpu.max_num_sgpr, 0
	.set amdgpu.max_num_named_barrier, 0
	.text
	.section	.debug_abbrev,"",@progbits
	.byte	1                               ; Abbreviation Code
	.byte	17                              ; DW_TAG_compile_unit
	.byte	0                               ; DW_CHILDREN_no
	.byte	37                              ; DW_AT_producer
	.byte	14                              ; DW_FORM_strp
	.byte	19                              ; DW_AT_language
	.byte	5                               ; DW_FORM_data2
	.byte	3                               ; DW_AT_name
	.byte	14                              ; DW_FORM_strp
	.byte	16                              ; DW_AT_stmt_list
	.byte	23                              ; DW_FORM_sec_offset
	.byte	27                              ; DW_AT_comp_dir
	.byte	14                              ; DW_FORM_strp
	.byte	17                              ; DW_AT_low_pc
	.byte	1                               ; DW_FORM_addr
	.byte	18                              ; DW_AT_high_pc
	.byte	6                               ; DW_FORM_data4
	.byte	0                               ; EOM(1)
	.byte	0                               ; EOM(2)
	;; [unrolled: 1-line block ×3, first 2 shown]
	.section	.debug_info,"",@progbits
.Lcu_begin0:
	.long	.Ldebug_info_end0-.Ldebug_info_start0 ; Length of Unit
.Ldebug_info_start0:
	.short	4                               ; DWARF version number
	.long	.debug_abbrev                   ; Offset Into Abbrev. Section
	.byte	8                               ; Address Size (in bytes)
	.byte	1                               ; Abbrev [1] 0xb:0x1f DW_TAG_compile_unit
	.long	.Linfo_string0                  ; DW_AT_producer
	.short	2                               ; DW_AT_language
	.long	.Linfo_string1                  ; DW_AT_name
	.long	.Lline_table_start0             ; DW_AT_stmt_list
	.long	.Linfo_string2                  ; DW_AT_comp_dir
	.quad	.Lfunc_begin0                   ; DW_AT_low_pc
	.long	.Lfunc_end0-.Lfunc_begin0       ; DW_AT_high_pc
.Ldebug_info_end0:
	.section	.debug_str,"MS",@progbits,1
.Linfo_string0:
	.asciz	"triton"                        ; string offset=0
.Linfo_string1:
	.asciz	"transpose_2d.py"               ; string offset=7
.Linfo_string2:
	.asciz	"/root/src/amdgpu-assembly/repos/triton-lang__triton-aot" ; string offset=23
	.section	".note.GNU-stack","",@progbits
	.amdgpu_metadata
---
amdhsa.kernels:
  - .args:
      - .address_space:  global
        .offset:         0
        .size:           8
        .value_kind:     global_buffer
      - .address_space:  global
        .offset:         8
        .size:           8
        .value_kind:     global_buffer
      - .offset:         16
        .size:           4
        .value_kind:     by_value
      - .offset:         20
        .size:           4
        .value_kind:     by_value
      - .offset:         24
        .size:           4
        .value_kind:     by_value
      - .offset:         28
        .size:           4
        .value_kind:     by_value
      - .offset:         32
        .size:           4
        .value_kind:     by_value
      - .offset:         36
        .size:           4
        .value_kind:     by_value
      - .address_space:  global
        .offset:         40
        .size:           8
        .value_kind:     global_buffer
      - .address_space:  global
        .offset:         48
        .size:           8
        .value_kind:     global_buffer
    .group_segment_fixed_size: 0
    .kernarg_segment_align: 8
    .kernarg_segment_size: 56
    .max_flat_workgroup_size: 256
    .name:           transpose_kernel
    .private_segment_fixed_size: 0
    .sgpr_count:     34
    .sgpr_spill_count: 0
    .symbol:         transpose_kernel.kd
    .uniform_work_group_size: 1
    .uses_dynamic_stack: false
    .vgpr_count:     27
    .vgpr_spill_count: 0
    .wavefront_size: 32
    .workgroup_processor_mode: 1
amdhsa.target:   amdgcn-amd-amdhsa--gfx1201
amdhsa.version:
  - 1
  - 2
...

	.end_amdgpu_metadata
	.section	.debug_line,"",@progbits
.Lline_table_start0:
